;; amdgpu-corpus repo=ROCm/rocFFT kind=compiled arch=gfx906 opt=O3
	.text
	.amdgcn_target "amdgcn-amd-amdhsa--gfx906"
	.amdhsa_code_object_version 6
	.protected	fft_rtc_fwd_len84_factors_2_6_7_wgs_189_tpt_7_dim2_sp_ip_CI_sbcc_twdbase8_3step_dirReg ; -- Begin function fft_rtc_fwd_len84_factors_2_6_7_wgs_189_tpt_7_dim2_sp_ip_CI_sbcc_twdbase8_3step_dirReg
	.globl	fft_rtc_fwd_len84_factors_2_6_7_wgs_189_tpt_7_dim2_sp_ip_CI_sbcc_twdbase8_3step_dirReg
	.p2align	8
	.type	fft_rtc_fwd_len84_factors_2_6_7_wgs_189_tpt_7_dim2_sp_ip_CI_sbcc_twdbase8_3step_dirReg,@function
fft_rtc_fwd_len84_factors_2_6_7_wgs_189_tpt_7_dim2_sp_ip_CI_sbcc_twdbase8_3step_dirReg: ; @fft_rtc_fwd_len84_factors_2_6_7_wgs_189_tpt_7_dim2_sp_ip_CI_sbcc_twdbase8_3step_dirReg
; %bb.0:
	s_load_dwordx4 s[0:3], s[4:5], 0x10
	s_mov_b32 s7, 0
	s_mov_b64 s[20:21], -1
	s_waitcnt lgkmcnt(0)
	s_load_dwordx2 s[16:17], s[0:1], 0x8
	s_load_dwordx2 s[14:15], s[4:5], 0x50
	;; [unrolled: 1-line block ×3, first 2 shown]
	s_waitcnt lgkmcnt(0)
	s_add_u32 s0, s16, -1
	s_addc_u32 s1, s17, -1
	s_add_u32 s8, 0, 0xd0975000
	s_addc_u32 s9, 0, 30
	s_add_i32 s9, s9, 0x97b4240
	s_mul_hi_u32 s19, s8, 0xffffffe5
	s_sub_i32 s19, s19, s8
	s_mul_i32 s22, s9, 0xffffffe5
	s_mul_i32 s10, s8, 0xffffffe5
	s_add_i32 s19, s19, s22
	s_mul_hi_u32 s11, s9, s10
	s_mul_i32 s18, s9, s10
	s_mul_i32 s23, s8, s19
	s_mul_hi_u32 s10, s8, s10
	s_mul_hi_u32 s22, s8, s19
	s_add_u32 s10, s10, s23
	s_addc_u32 s22, 0, s22
	s_add_u32 s10, s10, s18
	s_mul_hi_u32 s23, s9, s19
	s_addc_u32 s10, s22, s11
	s_addc_u32 s11, s23, 0
	s_mul_i32 s18, s9, s19
	s_add_u32 s10, s10, s18
	v_mov_b32_e32 v1, s10
	s_addc_u32 s11, 0, s11
	v_add_co_u32_e32 v1, vcc, s8, v1
	s_cmp_lg_u64 vcc, 0
	s_addc_u32 s8, s9, s11
	v_readfirstlane_b32 s11, v1
	s_mul_i32 s10, s0, s8
	s_mul_hi_u32 s18, s0, s11
	s_mul_hi_u32 s9, s0, s8
	s_add_u32 s10, s18, s10
	s_addc_u32 s9, 0, s9
	s_mul_hi_u32 s19, s1, s11
	s_mul_i32 s11, s1, s11
	s_add_u32 s10, s10, s11
	s_mul_hi_u32 s18, s1, s8
	s_addc_u32 s9, s9, s19
	s_addc_u32 s10, s18, 0
	s_mul_i32 s8, s1, s8
	s_add_u32 s8, s9, s8
	s_addc_u32 s9, 0, s10
	s_add_u32 s10, s8, 1
	s_addc_u32 s11, s9, 0
	s_add_u32 s18, s8, 2
	s_mul_i32 s22, s9, 27
	s_mul_hi_u32 s23, s8, 27
	s_addc_u32 s19, s9, 0
	s_add_i32 s23, s23, s22
	s_mul_i32 s22, s8, 27
	v_mov_b32_e32 v1, s22
	v_sub_co_u32_e32 v1, vcc, s0, v1
	s_cmp_lg_u64 vcc, 0
	s_subb_u32 s0, s1, s23
	v_subrev_co_u32_e32 v2, vcc, 27, v1
	s_cmp_lg_u64 vcc, 0
	s_subb_u32 s1, s0, 0
	v_readfirstlane_b32 s22, v2
	s_cmp_gt_u32 s22, 26
	s_cselect_b32 s22, -1, 0
	s_cmp_eq_u32 s1, 0
	s_cselect_b32 s1, s22, -1
	s_cmp_lg_u32 s1, 0
	s_cselect_b32 s1, s18, s10
	s_cselect_b32 s10, s19, s11
	v_readfirstlane_b32 s11, v1
	s_cmp_gt_u32 s11, 26
	s_cselect_b32 s11, -1, 0
	s_cmp_eq_u32 s0, 0
	s_cselect_b32 s0, s11, -1
	s_cmp_lg_u32 s0, 0
	s_cselect_b32 s0, s1, s8
	s_cselect_b32 s9, s10, s9
	s_add_u32 s0, s0, 1
	s_addc_u32 s1, s9, 0
	v_mov_b32_e32 v2, s1
	v_mov_b32_e32 v1, s0
	v_cmp_lt_u64_e32 vcc, s[6:7], v[1:2]
	s_mov_b64 s[22:23], 0
	s_cbranch_vccnz .LBB0_2
; %bb.1:
	v_cvt_f32_u32_e32 v1, s0
	s_sub_i32 s7, 0, s0
	v_rcp_iflag_f32_e32 v1, v1
	v_mul_f32_e32 v1, 0x4f7ffffe, v1
	v_cvt_u32_f32_e32 v1, v1
	v_readfirstlane_b32 s8, v1
	s_mul_i32 s7, s7, s8
	s_mul_hi_u32 s7, s8, s7
	s_add_i32 s8, s8, s7
	s_mul_hi_u32 s7, s6, s8
	s_mul_i32 s9, s7, s0
	s_sub_i32 s9, s6, s9
	s_add_i32 s8, s7, 1
	s_sub_i32 s10, s9, s0
	s_cmp_ge_u32 s9, s0
	s_cselect_b32 s7, s8, s7
	s_cselect_b32 s9, s10, s9
	s_add_i32 s8, s7, 1
	s_cmp_ge_u32 s9, s0
	s_cselect_b32 s22, s8, s7
.LBB0_2:
	s_mul_i32 s1, s22, s1
	s_mul_hi_u32 s7, s22, s0
	s_load_dwordx4 s[8:11], s[2:3], 0x8
	s_add_i32 s7, s7, s1
	s_mul_i32 s0, s22, s0
	s_sub_u32 s0, s6, s0
	s_subb_u32 s1, 0, s7
	s_mul_i32 s1, s1, 27
	s_mul_hi_u32 s2, s0, 27
	s_mul_i32 s0, s0, 27
	s_add_i32 s1, s2, s1
	s_waitcnt lgkmcnt(0)
	s_mul_i32 s3, s0, s9
	s_mul_hi_u32 s6, s0, s8
	v_mul_u32_u24_e32 v1, 0x97c, v0
	s_mul_i32 s2, s1, s8
	s_add_i32 s3, s6, s3
	s_mul_i32 s6, s11, s22
	s_mul_hi_u32 s7, s10, s22
	v_lshrrev_b32_e32 v86, 16, v1
	s_add_i32 s3, s3, s2
	s_mul_i32 s2, s0, s8
	s_add_i32 s7, s7, s6
	s_mul_i32 s6, s10, s22
	v_mul_lo_u16_e32 v1, 27, v86
	s_add_u32 s6, s6, s2
	v_sub_u16_e32 v88, v0, v1
	s_addc_u32 s7, s7, s3
	v_mov_b32_e32 v1, s1
	v_add_co_u32_e32 v12, vcc, s0, v88
	s_load_dwordx2 s[18:19], s[4:5], 0x0
	v_addc_co_u32_e32 v13, vcc, 0, v1, vcc
	s_add_u32 s0, s0, 27
	v_mov_b32_e32 v1, s16
	s_addc_u32 s1, s1, 0
	v_mov_b32_e32 v2, s17
	v_cmp_gt_u64_e32 vcc, s[0:1], v[1:2]
	v_cmp_le_u64_e64 s[0:1], s[0:1], v[1:2]
	v_add_u32_e32 v11, 7, v86
	v_add_u32_e32 v28, 14, v86
	;; [unrolled: 1-line block ×3, first 2 shown]
	s_cbranch_vccnz .LBB0_4
; %bb.3:
	v_mad_u64_u32 v[1:2], s[2:3], s8, v88, 0
	v_mad_u64_u32 v[3:4], s[2:3], s12, v86, 0
	v_add_u32_e32 v8, 42, v86
	v_add_u32_e32 v87, 7, v86
	v_mad_u64_u32 v[5:6], s[2:3], s9, v88, v[2:3]
	v_mov_b32_e32 v2, v4
	v_mad_u64_u32 v[6:7], s[2:3], s13, v86, v[2:3]
	s_lshl_b64 s[2:3], s[6:7], 3
	s_add_u32 s10, s14, s2
	s_addc_u32 s2, s15, s3
	v_mov_b32_e32 v2, v5
	v_mov_b32_e32 v4, v6
	;; [unrolled: 1-line block ×3, first 2 shown]
	v_mad_u64_u32 v[5:6], s[2:3], s12, v8, 0
	v_lshlrev_b64 v[1:2], 3, v[1:2]
	v_add_u32_e32 v30, 14, v86
	v_add_co_u32_e32 v9, vcc, s10, v1
	v_addc_co_u32_e32 v10, vcc, v7, v2, vcc
	v_lshlrev_b64 v[1:2], 3, v[3:4]
	v_mov_b32_e32 v3, v6
	v_mad_u64_u32 v[3:4], s[2:3], s13, v8, v[3:4]
	v_mad_u64_u32 v[7:8], s[2:3], s12, v87, 0
	v_add_co_u32_e32 v32, vcc, v9, v1
	v_mov_b32_e32 v6, v3
	v_mov_b32_e32 v3, v8
	v_addc_co_u32_e32 v33, vcc, v10, v2, vcc
	v_lshlrev_b64 v[1:2], 3, v[5:6]
	v_mad_u64_u32 v[3:4], s[2:3], s13, v87, v[3:4]
	v_add_u32_e32 v6, 49, v86
	v_mad_u64_u32 v[4:5], s[2:3], s12, v6, 0
	v_mov_b32_e32 v8, v3
	v_add_co_u32_e32 v34, vcc, v9, v1
	v_mov_b32_e32 v3, v5
	v_mad_u64_u32 v[5:6], s[2:3], s13, v6, v[3:4]
	v_addc_co_u32_e32 v35, vcc, v10, v2, vcc
	v_lshlrev_b64 v[1:2], 3, v[7:8]
	v_mad_u64_u32 v[6:7], s[2:3], s12, v30, 0
	v_add_co_u32_e32 v36, vcc, v9, v1
	v_mov_b32_e32 v3, v7
	v_addc_co_u32_e32 v37, vcc, v10, v2, vcc
	v_lshlrev_b64 v[1:2], 3, v[4:5]
	v_mad_u64_u32 v[3:4], s[2:3], s13, v30, v[3:4]
	v_add_u32_e32 v8, 56, v86
	v_mad_u64_u32 v[4:5], s[2:3], s12, v8, 0
	v_add_co_u32_e32 v38, vcc, v9, v1
	v_mov_b32_e32 v7, v3
	v_mov_b32_e32 v3, v5
	v_addc_co_u32_e32 v39, vcc, v10, v2, vcc
	v_lshlrev_b64 v[1:2], 3, v[6:7]
	v_mad_u64_u32 v[5:6], s[2:3], s13, v8, v[3:4]
	v_add_u32_e32 v8, 21, v86
	v_mad_u64_u32 v[6:7], s[2:3], s12, v8, 0
	v_add_co_u32_e32 v40, vcc, v9, v1
	v_mov_b32_e32 v3, v7
	v_addc_co_u32_e32 v41, vcc, v10, v2, vcc
	v_lshlrev_b64 v[1:2], 3, v[4:5]
	v_mad_u64_u32 v[3:4], s[2:3], s13, v8, v[3:4]
	v_add_u32_e32 v8, 63, v86
	v_mad_u64_u32 v[4:5], s[2:3], s12, v8, 0
	v_add_co_u32_e32 v42, vcc, v9, v1
	v_mov_b32_e32 v7, v3
	v_mov_b32_e32 v3, v5
	v_addc_co_u32_e32 v43, vcc, v10, v2, vcc
	v_lshlrev_b64 v[1:2], 3, v[6:7]
	v_mad_u64_u32 v[5:6], s[2:3], s13, v8, v[3:4]
	v_add_u32_e32 v31, 28, v86
	;; [unrolled: 15-line block ×3, first 2 shown]
	v_mad_u64_u32 v[6:7], s[2:3], s12, v8, 0
	v_add_co_u32_e32 v48, vcc, v9, v1
	v_mov_b32_e32 v3, v7
	v_addc_co_u32_e32 v49, vcc, v10, v2, vcc
	v_lshlrev_b64 v[1:2], 3, v[4:5]
	v_mad_u64_u32 v[3:4], s[2:3], s13, v8, v[3:4]
	v_add_u32_e32 v8, 0x4d, v86
	v_mad_u64_u32 v[4:5], s[2:3], s12, v8, 0
	v_add_co_u32_e32 v50, vcc, v9, v1
	v_mov_b32_e32 v7, v3
	v_mov_b32_e32 v3, v5
	v_addc_co_u32_e32 v51, vcc, v10, v2, vcc
	v_lshlrev_b64 v[1:2], 3, v[6:7]
	v_mad_u64_u32 v[5:6], s[2:3], s13, v8, v[3:4]
	v_add_co_u32_e32 v52, vcc, v9, v1
	v_addc_co_u32_e32 v53, vcc, v10, v2, vcc
	v_lshlrev_b64 v[1:2], 3, v[4:5]
	v_add_co_u32_e32 v54, vcc, v9, v1
	v_addc_co_u32_e32 v55, vcc, v10, v2, vcc
	global_load_dwordx2 v[5:6], v[32:33], off
	global_load_dwordx2 v[7:8], v[34:35], off
	;; [unrolled: 1-line block ×12, first 2 shown]
	s_cbranch_execz .LBB0_5
	s_branch .LBB0_10
.LBB0_4:
                                        ; implicit-def: $vgpr1
                                        ; implicit-def: $vgpr9
                                        ; implicit-def: $vgpr22
                                        ; implicit-def: $vgpr20
                                        ; implicit-def: $vgpr26
                                        ; implicit-def: $vgpr24
                                        ; implicit-def: $vgpr16
                                        ; implicit-def: $vgpr14
                                        ; implicit-def: $vgpr18
                                        ; implicit-def: $vgpr87
                                        ; implicit-def: $vgpr30
                                        ; implicit-def: $vgpr31
                                        ; implicit-def: $vgpr3
                                        ; implicit-def: $vgpr7
                                        ; implicit-def: $vgpr5
	s_andn2_b64 vcc, exec, s[20:21]
	s_cbranch_vccnz .LBB0_10
.LBB0_5:
	v_cmp_le_u64_e32 vcc, s[16:17], v[12:13]
                                        ; implicit-def: $vgpr87
                                        ; implicit-def: $vgpr30
                                        ; implicit-def: $vgpr31
	s_and_saveexec_b64 s[2:3], vcc
	s_xor_b64 s[2:3], exec, s[2:3]
; %bb.6:
	v_add_u32_e32 v87, 7, v86
	v_add_u32_e32 v30, 14, v86
	;; [unrolled: 1-line block ×3, first 2 shown]
                                        ; implicit-def: $vgpr11
                                        ; implicit-def: $vgpr28
                                        ; implicit-def: $vgpr29
; %bb.7:
	s_or_saveexec_b64 s[2:3], s[2:3]
                                        ; implicit-def: $vgpr1
                                        ; implicit-def: $vgpr9
                                        ; implicit-def: $vgpr22
                                        ; implicit-def: $vgpr20
                                        ; implicit-def: $vgpr26
                                        ; implicit-def: $vgpr24
                                        ; implicit-def: $vgpr16
                                        ; implicit-def: $vgpr14
                                        ; implicit-def: $vgpr18
                                        ; implicit-def: $vgpr3
                                        ; implicit-def: $vgpr7
                                        ; implicit-def: $vgpr5
	s_xor_b64 exec, exec, s[2:3]
	s_cbranch_execz .LBB0_9
; %bb.8:
	s_waitcnt vmcnt(8)
	v_mad_u64_u32 v[1:2], s[10:11], s8, v88, 0
	v_mad_u64_u32 v[3:4], s[10:11], s12, v86, 0
	v_add_u32_e32 v8, 42, v86
	s_waitcnt vmcnt(3)
	v_add_u32_e32 v25, 56, v86
	v_mad_u64_u32 v[5:6], s[10:11], s9, v88, v[2:3]
	v_mov_b32_e32 v2, v4
	v_mad_u64_u32 v[6:7], s[10:11], s13, v86, v[2:3]
	s_lshl_b64 s[10:11], s[6:7], 3
	s_add_u32 s20, s14, s10
	s_addc_u32 s10, s15, s11
	v_mov_b32_e32 v2, v5
	v_mov_b32_e32 v4, v6
	;; [unrolled: 1-line block ×3, first 2 shown]
	v_mad_u64_u32 v[5:6], s[10:11], s12, v8, 0
	v_lshlrev_b64 v[1:2], 3, v[1:2]
	v_mad_u64_u32 v[18:19], s[10:11], s12, v28, 0
	v_add_co_u32_e32 v36, vcc, s20, v1
	v_addc_co_u32_e32 v37, vcc, v7, v2, vcc
	v_lshlrev_b64 v[1:2], 3, v[3:4]
	v_mov_b32_e32 v3, v6
	v_mad_u64_u32 v[3:4], s[10:11], s13, v8, v[3:4]
	v_mad_u64_u32 v[7:8], s[10:11], s12, v11, 0
	v_add_co_u32_e32 v9, vcc, v36, v1
	v_mov_b32_e32 v6, v3
	v_mov_b32_e32 v3, v8
	v_addc_co_u32_e32 v10, vcc, v37, v2, vcc
	v_lshlrev_b64 v[1:2], 3, v[5:6]
	v_mad_u64_u32 v[3:4], s[10:11], s13, v11, v[3:4]
	v_add_u32_e32 v6, 49, v86
	v_mad_u64_u32 v[4:5], s[10:11], s12, v6, 0
	v_mov_b32_e32 v8, v3
	v_add_co_u32_e32 v14, vcc, v36, v1
	v_mov_b32_e32 v3, v5
	v_mad_u64_u32 v[5:6], s[10:11], s13, v6, v[3:4]
	v_addc_co_u32_e32 v15, vcc, v37, v2, vcc
	v_lshlrev_b64 v[1:2], 3, v[7:8]
	s_waitcnt vmcnt(2)
	v_mad_u64_u32 v[26:27], s[10:11], s12, v29, 0
	v_add_co_u32_e32 v16, vcc, v36, v1
	v_addc_co_u32_e32 v17, vcc, v37, v2, vcc
	v_lshlrev_b64 v[1:2], 3, v[4:5]
	v_add_u32_e32 v35, 0x46, v86
	s_waitcnt vmcnt(1)
	v_add_co_u32_e32 v20, vcc, v36, v1
	v_mov_b32_e32 v1, v19
	s_waitcnt vmcnt(0)
	v_mad_u64_u32 v[22:23], s[10:11], s13, v28, v[1:2]
	v_mad_u64_u32 v[23:24], s[10:11], s12, v25, 0
	v_addc_co_u32_e32 v21, vcc, v37, v2, vcc
	global_load_dwordx2 v[5:6], v[9:10], off
	global_load_dwordx2 v[7:8], v[14:15], off
	;; [unrolled: 1-line block ×4, first 2 shown]
	v_mov_b32_e32 v14, v24
	v_mad_u64_u32 v[14:15], s[10:11], s13, v25, v[14:15]
	v_add_u32_e32 v17, 21, v86
	v_mad_u64_u32 v[15:16], s[10:11], s12, v17, 0
	v_mov_b32_e32 v19, v22
	v_mov_b32_e32 v24, v14
	;; [unrolled: 1-line block ×3, first 2 shown]
	v_lshlrev_b64 v[9:10], 3, v[18:19]
	v_mad_u64_u32 v[16:17], s[10:11], s13, v17, v[14:15]
	v_add_u32_e32 v19, 63, v86
	v_mad_u64_u32 v[17:18], s[10:11], s12, v19, 0
	v_add_co_u32_e32 v20, vcc, v36, v9
	v_addc_co_u32_e32 v21, vcc, v37, v10, vcc
	v_lshlrev_b64 v[9:10], 3, v[23:24]
	v_mov_b32_e32 v14, v18
	v_add_co_u32_e32 v22, vcc, v36, v9
	v_addc_co_u32_e32 v23, vcc, v37, v10, vcc
	v_lshlrev_b64 v[9:10], 3, v[15:16]
	v_mad_u64_u32 v[14:15], s[10:11], s13, v19, v[14:15]
	v_add_co_u32_e32 v24, vcc, v36, v9
	v_mov_b32_e32 v18, v14
	v_addc_co_u32_e32 v25, vcc, v37, v10, vcc
	v_lshlrev_b64 v[9:10], 3, v[17:18]
	v_mov_b32_e32 v87, v11
	v_add_co_u32_e32 v30, vcc, v36, v9
	v_mov_b32_e32 v9, v27
	v_mad_u64_u32 v[32:33], s[10:11], s13, v29, v[9:10]
	v_mad_u64_u32 v[33:34], s[10:11], s12, v35, 0
	v_addc_co_u32_e32 v31, vcc, v37, v10, vcc
	global_load_dwordx2 v[18:19], v[20:21], off
	global_load_dwordx2 v[9:10], v[22:23], off
	global_load_dwordx2 v[14:15], v[24:25], off
	global_load_dwordx2 v[16:17], v[30:31], off
	v_mov_b32_e32 v22, v34
	v_mad_u64_u32 v[22:23], s[10:11], s13, v35, v[22:23]
	v_add_u32_e32 v25, 35, v86
	v_mad_u64_u32 v[23:24], s[10:11], s12, v25, 0
	v_mov_b32_e32 v27, v32
	v_mov_b32_e32 v34, v22
	;; [unrolled: 1-line block ×3, first 2 shown]
	v_lshlrev_b64 v[20:21], 3, v[26:27]
	v_mad_u64_u32 v[24:25], s[10:11], s13, v25, v[22:23]
	v_add_u32_e32 v27, 0x4d, v86
	v_mad_u64_u32 v[25:26], s[10:11], s12, v27, 0
	v_add_co_u32_e32 v30, vcc, v36, v20
	v_addc_co_u32_e32 v31, vcc, v37, v21, vcc
	v_lshlrev_b64 v[20:21], 3, v[33:34]
	v_mov_b32_e32 v22, v26
	v_add_co_u32_e32 v32, vcc, v36, v20
	v_addc_co_u32_e32 v33, vcc, v37, v21, vcc
	v_lshlrev_b64 v[20:21], 3, v[23:24]
	v_mad_u64_u32 v[22:23], s[10:11], s13, v27, v[22:23]
	v_add_co_u32_e32 v34, vcc, v36, v20
	v_mov_b32_e32 v26, v22
	v_addc_co_u32_e32 v35, vcc, v37, v21, vcc
	v_lshlrev_b64 v[20:21], 3, v[25:26]
	v_add_co_u32_e32 v36, vcc, v36, v20
	v_addc_co_u32_e32 v37, vcc, v37, v21, vcc
	global_load_dwordx2 v[24:25], v[30:31], off
	global_load_dwordx2 v[26:27], v[32:33], off
	;; [unrolled: 1-line block ×4, first 2 shown]
	v_mov_b32_e32 v30, v28
	v_mov_b32_e32 v31, v29
.LBB0_9:
	s_or_b64 exec, exec, s[2:3]
.LBB0_10:
	s_waitcnt vmcnt(10)
	v_sub_f32_e32 v7, v5, v7
	v_sub_f32_e32 v8, v6, v8
	v_mul_u32_u24_e32 v11, 0x1b0, v86
	v_lshlrev_b32_e32 v36, 3, v88
	v_fma_f32 v5, v5, 2.0, -v7
	v_fma_f32 v6, v6, 2.0, -v8
	v_add3_u32 v28, 0, v11, v36
	s_waitcnt vmcnt(8)
	v_sub_f32_e32 v1, v3, v1
	v_sub_f32_e32 v2, v4, v2
	ds_write2_b64 v28, v[5:6], v[7:8] offset1:27
	v_mul_i32_i24_e32 v5, 0x1b0, v87
	v_fma_f32 v3, v3, 2.0, -v1
	v_fma_f32 v4, v4, 2.0, -v2
	v_add3_u32 v5, 0, v5, v36
	s_waitcnt vmcnt(6)
	v_sub_f32_e32 v9, v18, v9
	v_sub_f32_e32 v10, v19, v10
	s_waitcnt vmcnt(4)
	v_sub_f32_e32 v16, v14, v16
	v_sub_f32_e32 v17, v15, v17
	ds_write2_b64 v5, v[3:4], v[1:2] offset1:27
	v_mul_i32_i24_e32 v1, 0x1b0, v30
	v_fma_f32 v18, v18, 2.0, -v9
	v_fma_f32 v19, v19, 2.0, -v10
	;; [unrolled: 1-line block ×4, first 2 shown]
	v_add3_u32 v1, 0, v1, v36
	v_add_u32_e32 v2, 0x2000, v28
	s_waitcnt vmcnt(2)
	v_sub_f32_e32 v26, v24, v26
	v_sub_f32_e32 v27, v25, v27
	s_waitcnt vmcnt(0)
	v_sub_f32_e32 v22, v20, v22
	v_sub_f32_e32 v23, v21, v23
	ds_write2_b64 v1, v[18:19], v[9:10] offset1:27
	ds_write2_b64 v2, v[14:15], v[16:17] offset0:110 offset1:137
	v_mul_i32_i24_e32 v2, 0x1b0, v31
	v_fma_f32 v24, v24, 2.0, -v26
	v_fma_f32 v25, v25, 2.0, -v27
	;; [unrolled: 1-line block ×4, first 2 shown]
	v_add3_u32 v29, 0, v2, v36
	v_add_u32_e32 v2, 0x3800, v28
	v_and_b32_e32 v37, 1, v86
	ds_write2_b64 v29, v[24:25], v[26:27] offset1:27
	ds_write2_b64 v2, v[20:21], v[22:23] offset0:98 offset1:125
	v_mul_u32_u24_e32 v2, 5, v37
	v_lshlrev_b32_e32 v22, 3, v2
	s_waitcnt lgkmcnt(0)
	s_barrier
	global_load_dwordx4 v[2:5], v22, s[18:19]
	global_load_dwordx2 v[10:11], v22, s[18:19] offset:32
	v_and_b32_e32 v38, 1, v87
	v_mul_u32_u24_e32 v6, 5, v38
	v_lshlrev_b32_e32 v23, 3, v6
	global_load_dwordx4 v[6:9], v23, s[18:19] offset:16
	global_load_dwordx4 v[14:17], v22, s[18:19] offset:16
	global_load_dwordx4 v[18:21], v23, s[18:19]
	global_load_dwordx2 v[32:33], v23, s[18:19] offset:32
	s_movk_i32 s2, 0xff28
	v_mad_i32_i24 v22, v30, s2, v1
	v_mad_i32_i24 v1, v86, s2, v28
	;; [unrolled: 1-line block ×3, first 2 shown]
	ds_read_b64 v[30:31], v22
	ds_read_b64 v[34:35], v23
	v_add_u32_e32 v22, 0x3400, v1
	v_add_u32_e32 v26, 0x2800, v1
	ds_read2_b64 v[22:25], v22 offset0:37 offset1:226
	ds_read2_b64 v[26:29], v26 offset0:43 offset1:232
	s_movk_i32 s2, 0xd8
	s_waitcnt vmcnt(5) lgkmcnt(3)
	v_mul_f32_e32 v39, v3, v31
	v_mul_f32_e32 v40, v3, v30
	s_waitcnt lgkmcnt(2)
	v_mul_f32_e32 v3, v5, v35
	v_mul_f32_e32 v41, v5, v34
	s_waitcnt vmcnt(4) lgkmcnt(1)
	v_mul_f32_e32 v5, v25, v11
	v_fma_f32 v30, v2, v30, -v39
	v_fmac_f32_e32 v40, v2, v31
	v_add_u32_e32 v2, 0x1c00, v1
	v_mul_f32_e32 v11, v24, v11
	v_fma_f32 v31, v4, v34, -v3
	v_fmac_f32_e32 v41, v4, v35
	v_fma_f32 v24, v24, v10, -v5
	ds_read2_b64 v[2:5], v2 offset0:49 offset1:238
	s_waitcnt vmcnt(3)
	v_mul_f32_e32 v42, v23, v9
	v_mul_f32_e32 v43, v22, v9
	s_waitcnt lgkmcnt(1)
	v_mul_f32_e32 v9, v27, v7
	v_mul_f32_e32 v44, v26, v7
	v_fmac_f32_e32 v43, v23, v8
	v_fma_f32 v23, v26, v6, -v9
	v_fmac_f32_e32 v44, v27, v6
	s_waitcnt vmcnt(2)
	v_mul_f32_e32 v6, v17, v29
	v_fmac_f32_e32 v11, v25, v10
	v_fma_f32 v25, v16, v28, -v6
	v_mul_f32_e32 v17, v17, v28
	s_waitcnt lgkmcnt(0)
	v_mul_f32_e32 v6, v15, v5
	v_fmac_f32_e32 v17, v16, v29
	v_fma_f32 v16, v14, v4, -v6
	v_mul_f32_e32 v15, v15, v4
	s_waitcnt vmcnt(1)
	v_mul_f32_e32 v4, v3, v21
	v_mul_f32_e32 v21, v2, v21
	v_fmac_f32_e32 v15, v14, v5
	v_fma_f32 v14, v2, v20, -v4
	v_fmac_f32_e32 v21, v3, v20
	ds_read_b64 v[3:4], v1 offset:4536
	v_mul_i32_i24_e32 v2, 0xd8, v87
	v_fma_f32 v22, v22, v8, -v42
	v_add3_u32 v2, 0, v2, v36
	ds_read_b64 v[5:6], v1 offset:16632
	ds_read_b64 v[7:8], v2
	ds_read_b64 v[9:10], v1
	s_waitcnt lgkmcnt(3)
	v_mul_f32_e32 v20, v4, v19
	v_fma_f32 v20, v3, v18, -v20
	v_mul_f32_e32 v19, v3, v19
	s_waitcnt vmcnt(0) lgkmcnt(2)
	v_mul_f32_e32 v3, v6, v33
	v_fmac_f32_e32 v19, v4, v18
	v_fma_f32 v18, v5, v32, -v3
	s_waitcnt lgkmcnt(0)
	v_add_f32_e32 v3, v9, v31
	v_mul_f32_e32 v33, v5, v33
	v_add_f32_e32 v5, v3, v25
	v_add_f32_e32 v3, v31, v25
	v_fma_f32 v9, -0.5, v3, v9
	v_sub_f32_e32 v3, v41, v17
	v_mov_b32_e32 v26, v9
	v_fmac_f32_e32 v26, 0x3f5db3d7, v3
	v_fmac_f32_e32 v9, 0xbf5db3d7, v3
	v_add_f32_e32 v3, v10, v41
	v_fmac_f32_e32 v33, v6, v32
	v_add_f32_e32 v6, v3, v17
	v_add_f32_e32 v3, v41, v17
	v_fmac_f32_e32 v10, -0.5, v3
	v_sub_f32_e32 v3, v31, v25
	v_mov_b32_e32 v17, v10
	v_add_f32_e32 v4, v16, v24
	v_fmac_f32_e32 v17, 0xbf5db3d7, v3
	v_fmac_f32_e32 v10, 0x3f5db3d7, v3
	v_add_f32_e32 v3, v30, v16
	v_fmac_f32_e32 v30, -0.5, v4
	v_sub_f32_e32 v4, v15, v11
	v_mov_b32_e32 v25, v30
	v_fmac_f32_e32 v25, 0x3f5db3d7, v4
	v_fmac_f32_e32 v30, 0xbf5db3d7, v4
	v_add_f32_e32 v4, v40, v15
	v_add_f32_e32 v27, v4, v11
	;; [unrolled: 1-line block ×3, first 2 shown]
	v_fmac_f32_e32 v40, -0.5, v4
	v_add_f32_e32 v11, v3, v24
	v_sub_f32_e32 v3, v16, v24
	v_mov_b32_e32 v4, v40
	v_fmac_f32_e32 v4, 0xbf5db3d7, v3
	v_fmac_f32_e32 v40, 0x3f5db3d7, v3
	v_mul_f32_e32 v15, 0x3f5db3d7, v4
	v_mul_f32_e32 v16, -0.5, v30
	v_mul_f32_e32 v28, 0xbf5db3d7, v25
	v_add_f32_e32 v3, v5, v11
	v_sub_f32_e32 v5, v5, v11
	v_add_f32_e32 v11, v14, v22
	v_fmac_f32_e32 v15, 0.5, v25
	v_fmac_f32_e32 v16, 0x3f5db3d7, v40
	v_fmac_f32_e32 v28, 0.5, v4
	v_fma_f32 v11, -0.5, v11, v7
	v_add_f32_e32 v4, v6, v27
	v_sub_f32_e32 v6, v6, v27
	v_add_f32_e32 v24, v26, v15
	v_add_f32_e32 v25, v17, v28
	v_sub_f32_e32 v26, v26, v15
	v_sub_f32_e32 v27, v17, v28
	v_add_f32_e32 v28, v9, v16
	v_sub_f32_e32 v9, v9, v16
	v_sub_f32_e32 v15, v21, v43
	v_mov_b32_e32 v32, v11
	v_add_f32_e32 v16, v21, v43
	v_fmac_f32_e32 v32, 0x3f5db3d7, v15
	v_fmac_f32_e32 v11, 0xbf5db3d7, v15
	v_add_f32_e32 v15, v8, v21
	v_fmac_f32_e32 v8, -0.5, v16
	v_add_f32_e32 v7, v7, v14
	v_sub_f32_e32 v14, v14, v22
	v_mov_b32_e32 v21, v8
	v_add_f32_e32 v16, v23, v18
	v_fmac_f32_e32 v21, 0xbf5db3d7, v14
	v_fmac_f32_e32 v8, 0x3f5db3d7, v14
	v_add_f32_e32 v14, v20, v23
	v_fmac_f32_e32 v20, -0.5, v16
	v_sub_f32_e32 v16, v44, v33
	v_mov_b32_e32 v17, v20
	v_fmac_f32_e32 v17, 0x3f5db3d7, v16
	v_fmac_f32_e32 v20, 0xbf5db3d7, v16
	v_add_f32_e32 v16, v19, v44
	v_add_f32_e32 v7, v7, v22
	;; [unrolled: 1-line block ×4, first 2 shown]
	v_fmac_f32_e32 v19, -0.5, v16
	v_add_f32_e32 v14, v14, v18
	v_sub_f32_e32 v16, v23, v18
	v_mov_b32_e32 v18, v19
	v_fmac_f32_e32 v18, 0xbf5db3d7, v16
	v_fmac_f32_e32 v19, 0x3f5db3d7, v16
	v_mul_f32_e32 v31, -0.5, v40
	v_mul_f32_e32 v23, 0x3f5db3d7, v18
	v_mul_f32_e32 v34, 0xbf5db3d7, v17
	v_mul_f32_e32 v35, -0.5, v19
	v_fmac_f32_e32 v31, 0xbf5db3d7, v30
	v_add_f32_e32 v15, v15, v43
	v_fmac_f32_e32 v23, 0.5, v17
	v_mul_f32_e32 v33, -0.5, v20
	v_fmac_f32_e32 v34, 0.5, v18
	v_fmac_f32_e32 v35, 0xbf5db3d7, v20
	v_add_f32_e32 v29, v10, v31
	v_sub_f32_e32 v10, v10, v31
	v_fmac_f32_e32 v33, 0x3f5db3d7, v19
	v_add_f32_e32 v30, v7, v14
	v_add_f32_e32 v31, v15, v22
	v_sub_f32_e32 v16, v7, v14
	v_sub_f32_e32 v17, v15, v22
	v_add_f32_e32 v14, v32, v23
	v_add_f32_e32 v15, v21, v34
	v_sub_f32_e32 v18, v32, v23
	v_sub_f32_e32 v19, v21, v34
	v_add_f32_e32 v23, v8, v35
	v_sub_f32_e32 v21, v8, v35
	v_lshrrev_b32_e32 v7, 1, v86
	v_lshrrev_b32_e32 v8, 1, v87
	v_mul_u32_u24_e32 v7, 12, v7
	v_mul_lo_u32 v8, v8, 12
	v_or_b32_e32 v7, v7, v37
	v_mul_u32_u24_e32 v7, 0xd8, v7
	v_add3_u32 v7, 0, v7, v36
	s_barrier
	ds_write2_b64 v7, v[3:4], v[24:25] offset1:54
	v_or_b32_e32 v3, v8, v38
	v_mul_lo_u32 v3, v3, s2
	v_add_u32_e32 v4, 0x400, v7
	v_add_f32_e32 v22, v11, v33
	v_sub_f32_e32 v20, v11, v33
	v_add3_u32 v3, 0, v3, v36
	ds_write2_b64 v7, v[28:29], v[5:6] offset0:108 offset1:162
	ds_write2_b64 v4, v[26:27], v[9:10] offset0:88 offset1:142
	ds_write2_b64 v3, v[30:31], v[14:15] offset1:54
	ds_write2_b64 v3, v[22:23], v[16:17] offset0:108 offset1:162
	v_add_u32_e32 v3, 0x400, v3
	ds_write2_b64 v3, v[18:19], v[20:21] offset0:88 offset1:142
	s_waitcnt lgkmcnt(0)
	s_barrier
	ds_read_b64 v[8:9], v1
	ds_read_b64 v[36:37], v1 offset:2592
	ds_read_b64 v[34:35], v1 offset:5184
	ds_read_b64 v[32:33], v1 offset:7776
	ds_read_b64 v[30:31], v1 offset:10368
	ds_read_b64 v[28:29], v1 offset:12960
	ds_read_b64 v[10:11], v1 offset:15552
	s_movk_i32 s2, 0x87
	v_cmp_gt_u32_e64 s[2:3], s2, v0
                                        ; implicit-def: $vgpr25
                                        ; implicit-def: $vgpr27
	s_and_saveexec_b64 s[10:11], s[2:3]
	s_cbranch_execz .LBB0_12
; %bb.11:
	v_add_u32_e32 v0, 0x1800, v1
	ds_read2_b32 v[16:17], v0 offset0:138 offset1:139
	ds_read_b64 v[22:23], v1 offset:4104
	ds_read_b64 v[18:19], v1 offset:9288
	;; [unrolled: 1-line block ×4, first 2 shown]
	ds_read_b64 v[14:15], v2
	ds_read_b64 v[24:25], v1 offset:17064
.LBB0_12:
	s_or_b64 exec, exec, s[10:11]
	v_mul_lo_u16_e32 v0, 22, v86
	v_mov_b32_e32 v1, 12
	v_mul_lo_u16_sdwa v0, v0, v1 dst_sel:DWORD dst_unused:UNUSED_PAD src0_sel:BYTE_1 src1_sel:DWORD
	v_sub_u16_e32 v0, v86, v0
	v_and_b32_e32 v89, 0xff, v0
	v_mul_u32_u24_e32 v0, 6, v89
	v_lshlrev_b32_e32 v40, 3, v0
	global_load_dwordx4 v[4:7], v40, s[18:19] offset:80
	global_load_dwordx4 v[0:3], v40, s[18:19] offset:96
	s_load_dwordx2 s[4:5], s[4:5], 0x8
	v_mul_lo_u32 v72, v12, v89
	v_add_u32_e32 v90, 12, v89
	v_add_u32_e32 v91, 24, v89
	;; [unrolled: 1-line block ×3, first 2 shown]
	v_or_b32_e32 v44, 48, v89
	v_add_u32_e32 v93, 60, v89
	v_add_u32_e32 v94, 0x48, v89
	v_mul_lo_u32 v73, v12, v90
	v_mul_lo_u32 v74, v12, v91
	v_mul_lo_u32 v75, v12, v92
	v_mul_lo_u32 v80, v12, v44
	v_mul_lo_u32 v81, v12, v93
	v_mul_lo_u32 v82, v12, v94
	v_mov_b32_e32 v38, 3
	global_load_dwordx4 v[40:43], v40, s[18:19] offset:112
	v_lshlrev_b32_sdwa v48, v38, v72 dst_sel:DWORD dst_unused:UNUSED_PAD src0_sel:DWORD src1_sel:BYTE_0
	v_mov_b32_e32 v39, 0x1000
	v_lshlrev_b32_sdwa v49, v38, v72 dst_sel:DWORD dst_unused:UNUSED_PAD src0_sel:DWORD src1_sel:BYTE_1
	s_waitcnt lgkmcnt(0)
	global_load_dwordx2 v[44:45], v48, s[4:5]
	global_load_dwordx2 v[46:47], v49, s[4:5] offset:2048
	v_lshlrev_b32_sdwa v52, v38, v73 dst_sel:DWORD dst_unused:UNUSED_PAD src0_sel:DWORD src1_sel:BYTE_0
	v_bfe_u32 v72, v72, 16, 8
	v_lshlrev_b32_sdwa v53, v38, v73 dst_sel:DWORD dst_unused:UNUSED_PAD src0_sel:DWORD src1_sel:BYTE_1
	global_load_dwordx2 v[48:49], v52, s[4:5]
	global_load_dwordx2 v[50:51], v53, s[4:5] offset:2048
	v_lshlrev_b32_sdwa v56, v38, v74 dst_sel:DWORD dst_unused:UNUSED_PAD src0_sel:DWORD src1_sel:BYTE_0
	v_lshlrev_b32_sdwa v57, v38, v74 dst_sel:DWORD dst_unused:UNUSED_PAD src0_sel:DWORD src1_sel:BYTE_1
	v_lshlrev_b32_sdwa v60, v38, v75 dst_sel:DWORD dst_unused:UNUSED_PAD src0_sel:DWORD src1_sel:BYTE_0
	v_lshlrev_b32_sdwa v61, v38, v75 dst_sel:DWORD dst_unused:UNUSED_PAD src0_sel:DWORD src1_sel:BYTE_1
	;; [unrolled: 2-line block ×4, first 2 shown]
	v_lshlrev_b32_sdwa v76, v38, v82 dst_sel:DWORD dst_unused:UNUSED_PAD src0_sel:DWORD src1_sel:BYTE_0
	v_lshl_or_b32 v72, v72, 3, v39
	global_load_dwordx2 v[52:53], v56, s[4:5]
	global_load_dwordx2 v[54:55], v57, s[4:5] offset:2048
	s_nop 0
	global_load_dwordx2 v[56:57], v60, s[4:5]
	global_load_dwordx2 v[58:59], v61, s[4:5] offset:2048
	s_nop 0
	;; [unrolled: 3-line block ×3, first 2 shown]
	global_load_dwordx2 v[64:65], v68, s[4:5]
	global_load_dwordx2 v[66:67], v69, s[4:5] offset:2048
	v_lshlrev_b32_sdwa v77, v38, v82 dst_sel:DWORD dst_unused:UNUSED_PAD src0_sel:DWORD src1_sel:BYTE_1
	global_load_dwordx2 v[68:69], v76, s[4:5]
	global_load_dwordx2 v[70:71], v77, s[4:5] offset:2048
	v_bfe_u32 v76, v73, 16, 8
	global_load_dwordx2 v[72:73], v72, s[4:5]
	v_bfe_u32 v77, v74, 16, 8
	v_bfe_u32 v78, v75, 16, 8
	v_lshl_or_b32 v74, v76, 3, v39
	global_load_dwordx2 v[74:75], v74, s[4:5]
	v_lshl_or_b32 v84, v78, 3, v39
	v_lshl_or_b32 v83, v77, 3, v39
	global_load_dwordx2 v[76:77], v84, s[4:5]
	global_load_dwordx2 v[78:79], v83, s[4:5]
	v_bfe_u32 v80, v80, 16, 8
	v_bfe_u32 v81, v81, 16, 8
	;; [unrolled: 1-line block ×3, first 2 shown]
	v_lshl_or_b32 v84, v80, 3, v39
	v_lshl_or_b32 v85, v81, 3, v39
	;; [unrolled: 1-line block ×3, first 2 shown]
	global_load_dwordx2 v[80:81], v84, s[4:5]
	global_load_dwordx2 v[82:83], v85, s[4:5]
	s_movk_i32 s10, 0xab
	s_andn2_b64 vcc, exec, s[0:1]
	s_waitcnt vmcnt(22)
	v_mul_f32_e32 v84, v5, v37
	v_mul_f32_e32 v85, v5, v36
	;; [unrolled: 1-line block ×4, first 2 shown]
	v_fma_f32 v36, v4, v36, -v84
	v_fmac_f32_e32 v85, v4, v37
	v_fma_f32 v34, v6, v34, -v5
	global_load_dwordx2 v[4:5], v95, s[4:5]
	s_waitcnt vmcnt(22)
	v_mul_f32_e32 v96, v1, v33
	v_mul_f32_e32 v97, v1, v32
	;; [unrolled: 1-line block ×4, first 2 shown]
	v_fmac_f32_e32 v7, v6, v35
	v_fma_f32 v35, v2, v30, -v1
	v_fma_f32 v6, v0, v32, -v96
	v_fmac_f32_e32 v97, v0, v33
	v_mul_lo_u16_sdwa v0, v87, s10 dst_sel:DWORD dst_unused:UNUSED_PAD src0_sel:BYTE_0 src1_sel:DWORD
	s_waitcnt vmcnt(21)
	v_mul_f32_e32 v30, v41, v29
	v_mul_f32_e32 v41, v41, v28
	v_fma_f32 v95, v40, v28, -v30
	v_mul_f32_e32 v28, v43, v11
	v_fmac_f32_e32 v41, v40, v29
	v_mul_f32_e32 v40, v43, v10
	v_fma_f32 v10, v42, v10, -v28
	s_waitcnt vmcnt(19)
	v_mul_f32_e32 v28, v44, v47
	v_lshrrev_b16_e32 v0, 11, v0
	v_fmac_f32_e32 v40, v42, v11
	v_mul_f32_e32 v11, v45, v47
	v_fmac_f32_e32 v28, v45, v46
	s_waitcnt vmcnt(17)
	v_mul_f32_e32 v30, v48, v51
	v_mul_lo_u16_e32 v0, 12, v0
	v_fma_f32 v11, v44, v46, -v11
	v_mul_f32_e32 v29, v49, v51
	v_fmac_f32_e32 v30, v49, v50
	v_sub_u16_e32 v0, v87, v0
	v_fmac_f32_e32 v98, v2, v31
	s_waitcnt vmcnt(15)
	v_mul_f32_e32 v32, v52, v55
	v_and_b32_e32 v37, 0xff, v0
	v_fma_f32 v29, v48, v50, -v29
	v_mul_f32_e32 v31, v53, v55
	v_fmac_f32_e32 v32, v53, v54
	s_waitcnt vmcnt(13)
	v_mul_f32_e32 v42, v56, v59
	v_fma_f32 v31, v52, v54, -v31
	s_waitcnt vmcnt(6)
	v_mul_f32_e32 v49, v28, v73
	v_fma_f32 v49, v72, v11, -v49
	v_mul_f32_e32 v11, v11, v73
	v_fmac_f32_e32 v11, v72, v28
	s_waitcnt vmcnt(5)
	v_mul_f32_e32 v28, v30, v75
	v_mul_f32_e32 v33, v57, v59
	v_fmac_f32_e32 v42, v57, v58
	v_mul_f32_e32 v44, v60, v63
	v_fma_f32 v96, v74, v29, -v28
	v_mul_f32_e32 v75, v29, v75
	s_waitcnt vmcnt(3)
	v_mul_f32_e32 v28, v32, v79
	v_mul_lo_u32 v29, v12, v37
	v_fma_f32 v33, v56, v58, -v33
	v_mul_f32_e32 v43, v61, v63
	v_fmac_f32_e32 v44, v61, v62
	v_mul_f32_e32 v46, v64, v67
	v_fmac_f32_e32 v75, v74, v30
	v_fma_f32 v74, v78, v31, -v28
	v_mul_f32_e32 v79, v31, v79
	v_mul_f32_e32 v28, v42, v77
	v_fma_f32 v43, v60, v62, -v43
	v_mul_f32_e32 v45, v65, v67
	v_fmac_f32_e32 v46, v65, v66
	v_fmac_f32_e32 v79, v78, v32
	v_fma_f32 v78, v76, v33, -v28
	v_mul_f32_e32 v77, v33, v77
	s_waitcnt vmcnt(2)
	v_mul_f32_e32 v28, v44, v81
	v_mul_u32_u24_e32 v0, 6, v37
	v_fma_f32 v45, v64, v66, -v45
	v_mul_f32_e32 v47, v69, v71
	v_mul_f32_e32 v48, v68, v71
	v_fmac_f32_e32 v77, v76, v42
	v_fma_f32 v76, v80, v43, -v28
	s_waitcnt vmcnt(1)
	v_mul_f32_e32 v28, v46, v83
	v_lshlrev_b32_e32 v84, 3, v0
	v_fma_f32 v47, v68, v70, -v47
	v_fmac_f32_e32 v48, v69, v70
	v_mul_f32_e32 v99, v43, v81
	v_fma_f32 v100, v82, v45, -v28
	v_lshlrev_b32_sdwa v42, v38, v29 dst_sel:DWORD dst_unused:UNUSED_PAD src0_sel:DWORD src1_sel:BYTE_0
	v_bfe_u32 v28, v29, 16, 8
	global_load_dwordx4 v[0:3], v84, s[18:19] offset:80
	v_fmac_f32_e32 v99, v80, v44
	v_lshlrev_b32_sdwa v43, v38, v29 dst_sel:DWORD dst_unused:UNUSED_PAD src0_sel:DWORD src1_sel:BYTE_1
	v_lshl_or_b32 v44, v28, 3, v39
	global_load_dwordx2 v[30:31], v42, s[4:5]
	global_load_dwordx2 v[32:33], v43, s[4:5] offset:2048
	global_load_dwordx2 v[28:29], v44, s[4:5]
	s_waitcnt vmcnt(4)
	v_mul_f32_e32 v42, v48, v5
	v_mul_f32_e32 v103, v47, v5
	v_fma_f32 v102, v4, v47, -v42
	v_fmac_f32_e32 v103, v4, v48
	v_add_f32_e32 v4, v36, v10
	v_sub_f32_e32 v5, v36, v10
	v_add_f32_e32 v10, v85, v40
	v_sub_f32_e32 v36, v85, v40
	v_add_f32_e32 v40, v34, v95
	v_add_f32_e32 v42, v7, v41
	v_sub_f32_e32 v7, v7, v41
	v_add_f32_e32 v41, v6, v35
	v_sub_f32_e32 v34, v34, v95
	v_sub_f32_e32 v6, v35, v6
	v_add_f32_e32 v35, v97, v98
	v_add_f32_e32 v44, v40, v4
	v_sub_f32_e32 v48, v40, v4
	v_sub_f32_e32 v80, v4, v41
	v_add_f32_e32 v4, v42, v10
	v_sub_f32_e32 v43, v98, v97
	v_add_f32_e32 v97, v35, v4
	v_add_f32_e32 v4, v6, v34
	v_add_f32_e32 v81, v41, v44
	v_add_f32_e32 v106, v4, v5
	v_add_f32_e32 v4, v43, v7
	v_add_f32_e32 v111, v97, v9
	v_sub_f32_e32 v104, v5, v6
	v_sub_f32_e32 v105, v34, v5
	v_add_f32_e32 v110, v4, v36
	v_add_f32_e32 v4, v81, v8
	v_mul_f32_e32 v5, v111, v11
	v_mul_f32_e32 v101, v45, v83
	v_sub_f32_e32 v83, v42, v10
	v_sub_f32_e32 v85, v10, v35
	;; [unrolled: 1-line block ×4, first 2 shown]
	v_fma_f32 v72, v4, v49, -v5
	v_mul_f32_e32 v73, v4, v11
	v_add_u32_e32 v5, 12, v37
	v_mov_b32_e32 v112, v4
	v_add_u32_e32 v4, 24, v37
	v_add_u32_e32 v10, 36, v37
	v_or_b32_e32 v11, 48, v37
	v_add_u32_e32 v36, 60, v37
	v_mul_lo_u32 v5, v12, v5
	v_mul_lo_u32 v4, v12, v4
	;; [unrolled: 1-line block ×5, first 2 shown]
	v_add_u32_e32 v37, 0x48, v37
	v_mul_lo_u32 v37, v12, v37
	v_sub_f32_e32 v95, v35, v42
	v_sub_f32_e32 v98, v6, v34
	;; [unrolled: 1-line block ×3, first 2 shown]
	v_lshlrev_b32_sdwa v6, v38, v5 dst_sel:DWORD dst_unused:UNUSED_PAD src0_sel:DWORD src1_sel:BYTE_0
	v_lshlrev_b32_sdwa v7, v38, v5 dst_sel:DWORD dst_unused:UNUSED_PAD src0_sel:DWORD src1_sel:BYTE_1
	v_bfe_u32 v5, v5, 16, 8
	v_lshlrev_b32_sdwa v8, v38, v4 dst_sel:DWORD dst_unused:UNUSED_PAD src0_sel:DWORD src1_sel:BYTE_0
	v_lshlrev_b32_sdwa v9, v38, v4 dst_sel:DWORD dst_unused:UNUSED_PAD src0_sel:DWORD src1_sel:BYTE_1
	v_bfe_u32 v4, v4, 16, 8
	;; [unrolled: 3-line block ×5, first 2 shown]
	v_lshl_or_b32 v5, v5, 3, v39
	v_lshl_or_b32 v4, v4, 3, v39
	;; [unrolled: 1-line block ×5, first 2 shown]
	v_bfe_u32 v36, v37, 16, 8
	v_fmac_f32_e32 v101, v82, v46
	v_sub_f32_e32 v82, v41, v40
	v_lshlrev_b32_sdwa v114, v38, v37 dst_sel:DWORD dst_unused:UNUSED_PAD src0_sel:DWORD src1_sel:BYTE_0
	v_lshlrev_b32_sdwa v115, v38, v37 dst_sel:DWORD dst_unused:UNUSED_PAD src0_sel:DWORD src1_sel:BYTE_1
	v_lshl_or_b32 v116, v36, 3, v39
	global_load_dwordx2 v[68:69], v6, s[4:5]
	global_load_dwordx2 v[70:71], v7, s[4:5] offset:2048
	global_load_dwordx2 v[66:67], v5, s[4:5]
	global_load_dwordx2 v[62:63], v8, s[4:5]
	global_load_dwordx2 v[64:65], v9, s[4:5] offset:2048
	global_load_dwordx2 v[60:61], v4, s[4:5]
	;; [unrolled: 3-line block ×5, first 2 shown]
                                        ; kill: killed $vgpr45
                                        ; kill: killed $vgpr11
                                        ; kill: killed $vgpr44
                                        ; kill: killed $vgpr43
                                        ; kill: killed $vgpr10
                                        ; kill: killed $vgpr42
                                        ; kill: killed $vgpr35
                                        ; kill: killed $vgpr4
                                        ; kill: killed $vgpr34
                                        ; kill: killed $vgpr9
                                        ; kill: killed $vgpr5
                                        ; kill: killed $vgpr8
                                        ; kill: killed $vgpr7
                                        ; kill: killed $vgpr113
                                        ; kill: killed $vgpr6
	s_nop 0
	global_load_dwordx2 v[42:43], v114, s[4:5]
	global_load_dwordx2 v[44:45], v115, s[4:5] offset:2048
	global_load_dwordx2 v[34:35], v116, s[4:5]
	global_load_dwordx4 v[4:7], v84, s[18:19] offset:112
	global_load_dwordx4 v[8:11], v84, s[18:19] offset:96
	v_fmac_f32_e32 v73, v111, v49
	v_fmac_f32_e32 v111, 0xbf955555, v97
	v_mul_f32_e32 v49, 0x3f4a47b2, v80
	v_mul_f32_e32 v80, 0x3f4a47b2, v85
	;; [unrolled: 1-line block ×4, first 2 shown]
	s_mov_b32 s4, 0x3f5ff5aa
	s_mov_b32 s5, 0xbf3bfb3b
	v_fmac_f32_e32 v112, 0xbf955555, v81
	v_fma_f32 v81, v48, s5, -v49
	v_fmac_f32_e32 v49, 0x3d64c772, v82
	v_fma_f32 v107, v83, s5, -v80
	;; [unrolled: 2-line block ×4, first 2 shown]
	v_fmac_f32_e32 v98, 0x3eae86e6, v108
	v_add_f32_e32 v49, v49, v112
	v_add_f32_e32 v115, v80, v111
	v_fmac_f32_e32 v97, 0x3ee1c552, v106
	v_fmac_f32_e32 v98, 0x3ee1c552, v110
	v_add_f32_e32 v80, v98, v49
	v_sub_f32_e32 v116, v115, v97
	v_mul_f32_e32 v84, v116, v75
	v_mul_f32_e32 v85, v80, v75
	;; [unrolled: 1-line block ×3, first 2 shown]
	s_mov_b32 s4, 0xbeae86e6
	v_fma_f32 v84, v80, v96, -v84
	v_fma_f32 v75, v104, s4, -v75
	v_mul_f32_e32 v80, 0x3f5ff5aa, v109
	v_fmac_f32_e32 v85, v116, v96
	v_fma_f32 v96, v108, s4, -v80
	v_add_f32_e32 v105, v107, v111
	v_fmac_f32_e32 v75, 0x3ee1c552, v106
	v_add_f32_e32 v104, v81, v112
	v_fmac_f32_e32 v96, 0x3ee1c552, v110
	v_sub_f32_e32 v107, v105, v75
	v_add_f32_e32 v81, v96, v104
	v_mul_f32_e32 v80, v107, v79
	v_fma_f32 v80, v81, v74, -v80
	v_mul_f32_e32 v81, v81, v79
	v_fmac_f32_e32 v81, v107, v74
	v_mul_f32_e32 v74, 0x3d64c772, v82
	s_mov_b32 s4, 0x3f3bfb3b
	v_fma_f32 v48, v48, s4, -v74
	v_mul_f32_e32 v74, 0x3d64c772, v95
	v_fma_f32 v74, v83, s4, -v74
	v_add_f32_e32 v74, v74, v111
	v_fmac_f32_e32 v113, 0x3ee1c552, v106
	v_add_f32_e32 v48, v48, v112
	v_fmac_f32_e32 v114, 0x3ee1c552, v110
	v_add_f32_e32 v95, v113, v74
	v_sub_f32_e32 v79, v48, v114
	v_mul_f32_e32 v82, v95, v77
	v_add_f32_e32 v48, v114, v48
	v_fma_f32 v82, v79, v78, -v82
	v_mul_f32_e32 v83, v79, v77
	v_sub_f32_e32 v74, v74, v113
	v_mul_f32_e32 v79, v48, v99
	v_mul_f32_e32 v77, v74, v99
	v_fmac_f32_e32 v79, v74, v76
	v_add_f32_e32 v74, v75, v105
	v_fmac_f32_e32 v83, v95, v78
	v_fma_f32 v78, v48, v76, -v77
	v_sub_f32_e32 v48, v104, v96
	v_mul_f32_e32 v75, v74, v101
	v_fma_f32 v76, v48, v100, -v75
	v_mul_f32_e32 v77, v48, v101
	v_sub_f32_e32 v48, v49, v98
	v_add_f32_e32 v49, v97, v115
	v_fmac_f32_e32 v77, v74, v100
	v_mul_f32_e32 v74, v49, v103
	v_mul_f32_e32 v75, v48, v103
	v_fma_f32 v74, v48, v102, -v74
	v_fmac_f32_e32 v75, v49, v102
	s_cbranch_vccnz .LBB0_14
; %bb.13:
	v_mad_u64_u32 v[48:49], s[0:1], s8, v88, 0
	v_mad_u64_u32 v[95:96], s[0:1], s12, v89, 0
	s_waitcnt vmcnt(10)
	v_mad_u64_u32 v[97:98], s[0:1], s9, v88, v[49:50]
	v_mov_b32_e32 v49, v96
	v_mad_u64_u32 v[98:99], s[0:1], s13, v89, v[49:50]
	v_mov_b32_e32 v49, v97
	s_lshl_b64 s[0:1], s[6:7], 3
	s_add_u32 s0, s14, s0
	v_lshlrev_b64 v[48:49], 3, v[48:49]
	s_addc_u32 s1, s15, s1
	v_mov_b32_e32 v97, s1
	v_add_co_u32_e32 v48, vcc, s0, v48
	v_mov_b32_e32 v96, v98
	v_addc_co_u32_e32 v49, vcc, v97, v49, vcc
	v_mad_u64_u32 v[97:98], s[0:1], s12, v90, 0
	v_lshlrev_b64 v[95:96], 3, v[95:96]
	v_add_u32_e32 v101, 48, v89
	v_mad_u64_u32 v[98:99], s[0:1], s13, v90, v[98:99]
	v_mad_u64_u32 v[99:100], s[0:1], s12, v91, 0
	v_add_co_u32_e32 v95, vcc, v48, v95
	v_addc_co_u32_e32 v96, vcc, v49, v96, vcc
	global_store_dwordx2 v[95:96], v[72:73], off
	v_lshlrev_b64 v[95:96], 3, v[97:98]
	v_mov_b32_e32 v97, v100
	v_mad_u64_u32 v[97:98], s[0:1], s13, v91, v[97:98]
	v_add_co_u32_e32 v95, vcc, v48, v95
	v_mov_b32_e32 v100, v97
	v_mad_u64_u32 v[97:98], s[0:1], s12, v92, 0
	v_addc_co_u32_e32 v96, vcc, v49, v96, vcc
	global_store_dwordx2 v[95:96], v[84:85], off
	v_lshlrev_b64 v[95:96], 3, v[99:100]
	v_mad_u64_u32 v[98:99], s[0:1], s13, v92, v[98:99]
	v_mad_u64_u32 v[99:100], s[0:1], s12, v101, 0
	v_add_co_u32_e32 v95, vcc, v48, v95
	v_addc_co_u32_e32 v96, vcc, v49, v96, vcc
	global_store_dwordx2 v[95:96], v[80:81], off
	v_lshlrev_b64 v[95:96], 3, v[97:98]
	v_mov_b32_e32 v97, v100
	v_mad_u64_u32 v[97:98], s[0:1], s13, v101, v[97:98]
	v_add_co_u32_e32 v95, vcc, v48, v95
	v_mov_b32_e32 v100, v97
	v_mad_u64_u32 v[97:98], s[0:1], s12, v93, 0
	v_addc_co_u32_e32 v96, vcc, v49, v96, vcc
	global_store_dwordx2 v[95:96], v[82:83], off
	v_lshlrev_b64 v[95:96], 3, v[99:100]
	v_mad_u64_u32 v[98:99], s[0:1], s13, v93, v[98:99]
	v_mad_u64_u32 v[99:100], s[0:1], s12, v94, 0
	v_add_co_u32_e32 v95, vcc, v48, v95
	v_addc_co_u32_e32 v96, vcc, v49, v96, vcc
	global_store_dwordx2 v[95:96], v[78:79], off
	v_lshlrev_b64 v[95:96], 3, v[97:98]
	v_mov_b32_e32 v97, v100
	v_mad_u64_u32 v[97:98], s[0:1], s13, v94, v[97:98]
	v_add_co_u32_e32 v94, vcc, v48, v95
	v_addc_co_u32_e32 v95, vcc, v49, v96, vcc
	v_mov_b32_e32 v100, v97
	global_store_dwordx2 v[94:95], v[76:77], off
	v_lshlrev_b64 v[94:95], 3, v[99:100]
	v_add_co_u32_e32 v94, vcc, v48, v94
	v_addc_co_u32_e32 v95, vcc, v49, v95, vcc
	s_and_b64 s[0:1], s[2:3], exec
	global_store_dwordx2 v[94:95], v[74:75], off
	s_cbranch_execz .LBB0_15
	s_branch .LBB0_18
.LBB0_14:
	s_mov_b64 s[0:1], 0
                                        ; implicit-def: $vgpr48_vgpr49
.LBB0_15:
	v_cmp_gt_u64_e32 vcc, s[16:17], v[12:13]
                                        ; implicit-def: $vgpr48_vgpr49
	s_and_saveexec_b64 s[4:5], vcc
	s_cbranch_execz .LBB0_17
; %bb.16:
	v_mad_u64_u32 v[12:13], s[10:11], s8, v88, 0
	v_mad_u64_u32 v[94:95], s[10:11], s12, v89, 0
	v_mad_u64_u32 v[48:49], s[8:9], s9, v88, v[13:14]
	v_mov_b32_e32 v13, v95
	v_mad_u64_u32 v[95:96], s[8:9], s13, v89, v[13:14]
	v_mov_b32_e32 v13, v48
	s_lshl_b64 s[6:7], s[6:7], 3
	s_add_u32 s6, s14, s6
	v_lshlrev_b64 v[12:13], 3, v[12:13]
	s_addc_u32 s7, s15, s7
	v_mov_b32_e32 v49, s7
	v_add_co_u32_e32 v48, vcc, s6, v12
	v_addc_co_u32_e32 v49, vcc, v49, v13, vcc
	v_lshlrev_b64 v[12:13], 3, v[94:95]
	v_mad_u64_u32 v[94:95], s[6:7], s12, v90, 0
	v_add_co_u32_e32 v12, vcc, v48, v12
	v_mov_b32_e32 v88, v95
	v_mad_u64_u32 v[95:96], s[6:7], s13, v90, v[88:89]
	v_mad_u64_u32 v[96:97], s[6:7], s12, v91, 0
	v_addc_co_u32_e32 v13, vcc, v49, v13, vcc
	global_store_dwordx2 v[12:13], v[72:73], off
	v_mov_b32_e32 v72, v97
	v_mad_u64_u32 v[72:73], s[6:7], s13, v91, v[72:73]
	v_lshlrev_b64 v[12:13], 3, v[94:95]
	s_andn2_b64 s[0:1], s[0:1], exec
	v_mov_b32_e32 v97, v72
	v_mad_u64_u32 v[72:73], s[6:7], s12, v92, 0
	v_add_co_u32_e32 v12, vcc, v48, v12
	v_addc_co_u32_e32 v13, vcc, v49, v13, vcc
	global_store_dwordx2 v[12:13], v[84:85], off
	v_mad_u64_u32 v[84:85], s[6:7], s13, v92, v[73:74]
	v_add_u32_e32 v85, 48, v89
	v_lshlrev_b64 v[12:13], 3, v[96:97]
	v_mad_u64_u32 v[90:91], s[6:7], s12, v85, 0
	v_add_co_u32_e32 v12, vcc, v48, v12
	v_addc_co_u32_e32 v13, vcc, v49, v13, vcc
	v_mov_b32_e32 v73, v84
	global_store_dwordx2 v[12:13], v[80:81], off
	v_lshlrev_b64 v[12:13], 3, v[72:73]
	v_mov_b32_e32 v72, v91
	v_mad_u64_u32 v[72:73], s[6:7], s13, v85, v[72:73]
	v_add_co_u32_e32 v12, vcc, v48, v12
	v_mov_b32_e32 v91, v72
	v_mad_u64_u32 v[72:73], s[6:7], s12, v93, 0
	v_addc_co_u32_e32 v13, vcc, v49, v13, vcc
	global_store_dwordx2 v[12:13], v[82:83], off
	v_mad_u64_u32 v[80:81], s[6:7], s13, v93, v[73:74]
	v_add_u32_e32 v83, 0x48, v89
	v_lshlrev_b64 v[12:13], 3, v[90:91]
	v_mad_u64_u32 v[81:82], s[6:7], s12, v83, 0
	v_add_co_u32_e32 v12, vcc, v48, v12
	v_addc_co_u32_e32 v13, vcc, v49, v13, vcc
	v_mov_b32_e32 v73, v80
	global_store_dwordx2 v[12:13], v[78:79], off
	v_lshlrev_b64 v[12:13], 3, v[72:73]
	v_mov_b32_e32 v72, v82
	v_mad_u64_u32 v[72:73], s[6:7], s13, v83, v[72:73]
	v_add_co_u32_e32 v12, vcc, v48, v12
	v_addc_co_u32_e32 v13, vcc, v49, v13, vcc
	v_mov_b32_e32 v82, v72
	global_store_dwordx2 v[12:13], v[76:77], off
	v_lshlrev_b64 v[12:13], 3, v[81:82]
	s_and_b64 s[2:3], s[2:3], exec
	v_add_co_u32_e32 v12, vcc, v48, v12
	v_addc_co_u32_e32 v13, vcc, v49, v13, vcc
	s_or_b64 s[0:1], s[0:1], s[2:3]
	global_store_dwordx2 v[12:13], v[74:75], off
.LBB0_17:
	s_or_b64 exec, exec, s[4:5]
.LBB0_18:
	s_and_saveexec_b64 s[2:3], s[0:1]
	s_cbranch_execnz .LBB0_20
; %bb.19:
	s_endpgm
.LBB0_20:
	s_waitcnt vmcnt(23)
	v_mul_f32_e32 v12, v23, v1
	v_mul_f32_e32 v1, v22, v1
	v_fma_f32 v12, v22, v0, -v12
	v_fmac_f32_e32 v1, v23, v0
	v_mul_f32_e32 v0, v17, v3
	v_mul_f32_e32 v3, v16, v3
	v_fma_f32 v0, v16, v2, -v0
	v_fmac_f32_e32 v3, v17, v2
	s_waitcnt vmcnt(0)
	v_mul_f32_e32 v2, v19, v9
	v_mul_f32_e32 v9, v18, v9
	v_fma_f32 v2, v18, v8, -v2
	v_fmac_f32_e32 v9, v19, v8
	v_mul_f32_e32 v8, v21, v11
	v_mul_f32_e32 v11, v20, v11
	v_fma_f32 v8, v20, v10, -v8
	v_fmac_f32_e32 v11, v21, v10
	;; [unrolled: 4-line block ×4, first 2 shown]
	v_add_f32_e32 v6, v12, v4
	v_add_f32_e32 v13, v1, v7
	v_sub_f32_e32 v1, v1, v7
	v_add_f32_e32 v7, v0, v10
	v_sub_f32_e32 v4, v12, v4
	;; [unrolled: 2-line block ×3, first 2 shown]
	v_sub_f32_e32 v3, v3, v5
	v_add_f32_e32 v5, v2, v8
	v_add_f32_e32 v10, v9, v11
	v_sub_f32_e32 v2, v8, v2
	v_sub_f32_e32 v8, v11, v9
	v_add_f32_e32 v9, v7, v6
	v_add_f32_e32 v11, v12, v13
	v_sub_f32_e32 v16, v7, v6
	v_sub_f32_e32 v6, v6, v5
	;; [unrolled: 1-line block ×3, first 2 shown]
	v_add_f32_e32 v5, v5, v9
	v_sub_f32_e32 v17, v12, v13
	v_sub_f32_e32 v13, v13, v10
	;; [unrolled: 1-line block ×3, first 2 shown]
	v_add_f32_e32 v9, v10, v11
	v_add_f32_e32 v10, v14, v5
	;; [unrolled: 1-line block ×3, first 2 shown]
	v_mov_b32_e32 v22, v10
	v_add_f32_e32 v18, v2, v0
	v_sub_f32_e32 v20, v2, v0
	v_mul_f32_e32 v14, 0x3d64c772, v7
	v_mul_f32_e32 v15, 0x3d64c772, v12
	v_fmac_f32_e32 v22, 0xbf955555, v5
	v_mov_b32_e32 v5, v11
	s_mov_b32 s1, 0x3f3bfb3b
	v_add_f32_e32 v19, v8, v3
	v_sub_f32_e32 v21, v8, v3
	v_sub_f32_e32 v2, v4, v2
	;; [unrolled: 1-line block ×3, first 2 shown]
	v_add_f32_e32 v4, v18, v4
	v_mul_f32_e32 v6, 0x3f4a47b2, v6
	v_mul_f32_e32 v13, 0x3f4a47b2, v13
	;; [unrolled: 1-line block ×3, first 2 shown]
	s_mov_b32 s0, 0x3f5ff5aa
	v_fmac_f32_e32 v5, 0xbf955555, v9
	v_fma_f32 v9, v16, s1, -v14
	v_fma_f32 v14, v17, s1, -v15
	s_mov_b32 s1, 0xbf3bfb3b
	v_sub_f32_e32 v8, v1, v8
	v_sub_f32_e32 v3, v3, v1
	v_add_f32_e32 v1, v19, v1
	v_mul_f32_e32 v19, 0xbf08b237, v21
	v_mul_f32_e32 v20, 0x3f5ff5aa, v0
	v_fma_f32 v15, v16, s1, -v6
	v_fmac_f32_e32 v6, 0x3d64c772, v7
	v_fma_f32 v7, v17, s1, -v13
	v_fmac_f32_e32 v13, 0x3d64c772, v12
	v_fma_f32 v0, v0, s0, -v18
	v_mul_f32_e32 v21, 0x3f5ff5aa, v3
	v_fma_f32 v3, v3, s0, -v19
	s_mov_b32 s0, 0xbeae86e6
	v_add_f32_e32 v12, v13, v5
	v_add_f32_e32 v13, v14, v5
	v_fmac_f32_e32 v0, 0x3ee1c552, v4
	v_fmac_f32_e32 v18, 0x3eae86e6, v2
	;; [unrolled: 1-line block ×3, first 2 shown]
	v_fma_f32 v2, v2, s0, -v20
	v_fma_f32 v8, v8, s0, -v21
	v_add_f32_e32 v20, v0, v13
	v_sub_f32_e32 v13, v13, v0
	v_mul_f32_e32 v0, v31, v33
	v_add_f32_e32 v9, v9, v22
	v_fmac_f32_e32 v19, 0x3ee1c552, v1
	v_fmac_f32_e32 v3, 0x3ee1c552, v1
	;; [unrolled: 1-line block ×3, first 2 shown]
	v_fma_f32 v0, v30, v32, -v0
	v_mul_f32_e32 v1, v30, v33
	v_add_f32_e32 v5, v7, v5
	v_fmac_f32_e32 v2, 0x3ee1c552, v4
	v_sub_f32_e32 v17, v9, v3
	v_add_f32_e32 v9, v3, v9
	v_fmac_f32_e32 v1, v31, v32
	v_mul_f32_e32 v3, v0, v29
	v_sub_f32_e32 v16, v5, v2
	v_add_f32_e32 v21, v2, v5
	v_mul_f32_e32 v2, v1, v29
	v_fmac_f32_e32 v3, v28, v1
	v_fma_f32 v2, v28, v0, -v2
	v_mul_f32_e32 v0, v11, v3
	v_mul_f32_e32 v1, v10, v3
	v_fma_f32 v0, v10, v2, -v0
	v_fmac_f32_e32 v1, v11, v2
	v_mul_f32_e32 v2, v69, v71
	v_add_f32_e32 v6, v6, v22
	v_fma_f32 v2, v68, v70, -v2
	v_mul_f32_e32 v3, v68, v71
	v_fmac_f32_e32 v18, 0x3ee1c552, v4
	v_add_f32_e32 v4, v19, v6
	v_sub_f32_e32 v19, v6, v19
	v_fmac_f32_e32 v3, v69, v70
	v_mul_f32_e32 v6, v2, v67
	v_sub_f32_e32 v7, v12, v18
	v_mul_f32_e32 v5, v3, v67
	v_fmac_f32_e32 v6, v66, v3
	v_fma_f32 v5, v66, v2, -v5
	v_mul_f32_e32 v2, v7, v6
	v_fma_f32 v2, v4, v5, -v2
	v_mul_f32_e32 v3, v4, v6
	v_mul_f32_e32 v4, v63, v65
	v_fmac_f32_e32 v3, v7, v5
	v_fma_f32 v4, v62, v64, -v4
	v_mul_f32_e32 v5, v62, v65
	v_add_f32_e32 v14, v15, v22
	v_fmac_f32_e32 v5, v63, v64
	v_mul_f32_e32 v7, v4, v61
	v_add_f32_e32 v15, v8, v14
	v_mul_f32_e32 v6, v5, v61
	v_fmac_f32_e32 v7, v60, v5
	v_fma_f32 v6, v60, v4, -v6
	v_mul_f32_e32 v4, v16, v7
	v_mul_f32_e32 v5, v15, v7
	v_fma_f32 v4, v15, v6, -v4
	v_fmac_f32_e32 v5, v16, v6
	v_mul_f32_e32 v6, v57, v59
	v_fma_f32 v6, v56, v58, -v6
	v_mul_f32_e32 v7, v56, v59
	v_fmac_f32_e32 v7, v57, v58
	v_mul_f32_e32 v10, v6, v55
	v_sub_f32_e32 v14, v14, v8
	v_mul_f32_e32 v8, v7, v55
	v_fmac_f32_e32 v10, v54, v7
	v_fma_f32 v8, v54, v6, -v8
	v_mul_f32_e32 v6, v20, v10
	v_mul_f32_e32 v7, v17, v10
	v_fma_f32 v6, v17, v8, -v6
	v_fmac_f32_e32 v7, v20, v8
	v_mul_f32_e32 v8, v51, v53
	v_fma_f32 v8, v50, v52, -v8
	v_mul_f32_e32 v10, v50, v53
	v_add_f32_e32 v18, v18, v12
	v_fmac_f32_e32 v10, v51, v52
	v_mul_f32_e32 v12, v8, v47
	v_mul_f32_e32 v11, v10, v47
	v_fmac_f32_e32 v12, v46, v10
	v_fma_f32 v11, v46, v8, -v11
	v_mul_f32_e32 v8, v13, v12
	v_fma_f32 v8, v9, v11, -v8
	v_mul_f32_e32 v9, v9, v12
	v_mul_f32_e32 v10, v39, v41
	v_fmac_f32_e32 v9, v13, v11
	v_fma_f32 v10, v38, v40, -v10
	v_mul_f32_e32 v11, v38, v41
	v_fmac_f32_e32 v11, v39, v40
	v_mul_f32_e32 v13, v10, v37
	v_mul_f32_e32 v12, v11, v37
	v_fmac_f32_e32 v13, v36, v11
	v_fma_f32 v12, v36, v10, -v12
	v_mul_f32_e32 v10, v21, v13
	v_mul_f32_e32 v11, v14, v13
	v_mul_f32_e32 v15, v42, v45
	v_fma_f32 v10, v14, v12, -v10
	v_fmac_f32_e32 v11, v21, v12
	v_mul_f32_e32 v12, v43, v45
	v_fmac_f32_e32 v15, v43, v44
	v_fma_f32 v14, v42, v44, -v12
	v_mul_f32_e32 v12, v15, v35
	v_fma_f32 v16, v34, v14, -v12
	v_mad_u64_u32 v[12:13], s[0:1], s12, v87, 0
	v_mul_f32_e32 v17, v14, v35
	v_fmac_f32_e32 v17, v34, v15
	v_mul_f32_e32 v15, v18, v17
	v_mad_u64_u32 v[13:14], s[0:1], s13, v87, v[13:14]
	v_fma_f32 v14, v19, v16, -v15
	v_mul_f32_e32 v15, v19, v17
	v_fmac_f32_e32 v15, v18, v16
	v_add_u32_e32 v18, 19, v86
	v_mad_u64_u32 v[16:17], s[0:1], s12, v18, 0
	v_add_u32_e32 v20, 31, v86
	v_lshlrev_b64 v[12:13], 3, v[12:13]
	v_mad_u64_u32 v[17:18], s[0:1], s13, v18, v[17:18]
	v_mad_u64_u32 v[18:19], s[0:1], s12, v20, 0
	v_add_co_u32_e32 v12, vcc, v48, v12
	v_addc_co_u32_e32 v13, vcc, v49, v13, vcc
	global_store_dwordx2 v[12:13], v[0:1], off
	v_mov_b32_e32 v12, v19
	v_mad_u64_u32 v[12:13], s[0:1], s13, v20, v[12:13]
	v_lshlrev_b64 v[0:1], 3, v[16:17]
	v_add_co_u32_e32 v0, vcc, v48, v0
	v_addc_co_u32_e32 v1, vcc, v49, v1, vcc
	v_mov_b32_e32 v19, v12
	v_add_u32_e32 v12, 43, v86
	global_store_dwordx2 v[0:1], v[2:3], off
	v_mad_u64_u32 v[2:3], s[0:1], s12, v12, 0
	v_lshlrev_b64 v[0:1], 3, v[18:19]
	v_mad_u64_u32 v[12:13], s[0:1], s13, v12, v[3:4]
	v_add_u32_e32 v13, 55, v86
	v_mad_u64_u32 v[16:17], s[0:1], s12, v13, 0
	v_add_co_u32_e32 v0, vcc, v48, v0
	v_addc_co_u32_e32 v1, vcc, v49, v1, vcc
	v_mov_b32_e32 v3, v12
	global_store_dwordx2 v[0:1], v[4:5], off
	v_lshlrev_b64 v[0:1], 3, v[2:3]
	v_mov_b32_e32 v2, v17
	v_mad_u64_u32 v[2:3], s[0:1], s13, v13, v[2:3]
	v_add_u32_e32 v4, 0x43, v86
	v_add_co_u32_e32 v0, vcc, v48, v0
	v_mov_b32_e32 v17, v2
	v_mad_u64_u32 v[2:3], s[0:1], s12, v4, 0
	v_addc_co_u32_e32 v1, vcc, v49, v1, vcc
	global_store_dwordx2 v[0:1], v[6:7], off
	v_mad_u64_u32 v[3:4], s[0:1], s13, v4, v[3:4]
	v_add_u32_e32 v6, 0x4f, v86
	v_lshlrev_b64 v[0:1], 3, v[16:17]
	v_mad_u64_u32 v[4:5], s[0:1], s12, v6, 0
	v_add_co_u32_e32 v0, vcc, v48, v0
	v_addc_co_u32_e32 v1, vcc, v49, v1, vcc
	global_store_dwordx2 v[0:1], v[8:9], off
	v_lshlrev_b64 v[0:1], 3, v[2:3]
	v_mov_b32_e32 v2, v5
	v_mad_u64_u32 v[2:3], s[0:1], s13, v6, v[2:3]
	v_add_co_u32_e32 v0, vcc, v48, v0
	v_addc_co_u32_e32 v1, vcc, v49, v1, vcc
	v_mov_b32_e32 v5, v2
	global_store_dwordx2 v[0:1], v[10:11], off
	v_lshlrev_b64 v[0:1], 3, v[4:5]
	v_add_co_u32_e32 v0, vcc, v48, v0
	v_addc_co_u32_e32 v1, vcc, v49, v1, vcc
	global_store_dwordx2 v[0:1], v[14:15], off
	s_endpgm
	.section	.rodata,"a",@progbits
	.p2align	6, 0x0
	.amdhsa_kernel fft_rtc_fwd_len84_factors_2_6_7_wgs_189_tpt_7_dim2_sp_ip_CI_sbcc_twdbase8_3step_dirReg
		.amdhsa_group_segment_fixed_size 0
		.amdhsa_private_segment_fixed_size 0
		.amdhsa_kernarg_size 88
		.amdhsa_user_sgpr_count 6
		.amdhsa_user_sgpr_private_segment_buffer 1
		.amdhsa_user_sgpr_dispatch_ptr 0
		.amdhsa_user_sgpr_queue_ptr 0
		.amdhsa_user_sgpr_kernarg_segment_ptr 1
		.amdhsa_user_sgpr_dispatch_id 0
		.amdhsa_user_sgpr_flat_scratch_init 0
		.amdhsa_user_sgpr_private_segment_size 0
		.amdhsa_uses_dynamic_stack 0
		.amdhsa_system_sgpr_private_segment_wavefront_offset 0
		.amdhsa_system_sgpr_workgroup_id_x 1
		.amdhsa_system_sgpr_workgroup_id_y 0
		.amdhsa_system_sgpr_workgroup_id_z 0
		.amdhsa_system_sgpr_workgroup_info 0
		.amdhsa_system_vgpr_workitem_id 0
		.amdhsa_next_free_vgpr 117
		.amdhsa_next_free_sgpr 24
		.amdhsa_reserve_vcc 1
		.amdhsa_reserve_flat_scratch 0
		.amdhsa_float_round_mode_32 0
		.amdhsa_float_round_mode_16_64 0
		.amdhsa_float_denorm_mode_32 3
		.amdhsa_float_denorm_mode_16_64 3
		.amdhsa_dx10_clamp 1
		.amdhsa_ieee_mode 1
		.amdhsa_fp16_overflow 0
		.amdhsa_exception_fp_ieee_invalid_op 0
		.amdhsa_exception_fp_denorm_src 0
		.amdhsa_exception_fp_ieee_div_zero 0
		.amdhsa_exception_fp_ieee_overflow 0
		.amdhsa_exception_fp_ieee_underflow 0
		.amdhsa_exception_fp_ieee_inexact 0
		.amdhsa_exception_int_div_zero 0
	.end_amdhsa_kernel
	.text
.Lfunc_end0:
	.size	fft_rtc_fwd_len84_factors_2_6_7_wgs_189_tpt_7_dim2_sp_ip_CI_sbcc_twdbase8_3step_dirReg, .Lfunc_end0-fft_rtc_fwd_len84_factors_2_6_7_wgs_189_tpt_7_dim2_sp_ip_CI_sbcc_twdbase8_3step_dirReg
                                        ; -- End function
	.section	.AMDGPU.csdata,"",@progbits
; Kernel info:
; codeLenInByte = 7992
; NumSgprs: 28
; NumVgprs: 117
; ScratchSize: 0
; MemoryBound: 0
; FloatMode: 240
; IeeeMode: 1
; LDSByteSize: 0 bytes/workgroup (compile time only)
; SGPRBlocks: 3
; VGPRBlocks: 29
; NumSGPRsForWavesPerEU: 28
; NumVGPRsForWavesPerEU: 117
; Occupancy: 2
; WaveLimiterHint : 1
; COMPUTE_PGM_RSRC2:SCRATCH_EN: 0
; COMPUTE_PGM_RSRC2:USER_SGPR: 6
; COMPUTE_PGM_RSRC2:TRAP_HANDLER: 0
; COMPUTE_PGM_RSRC2:TGID_X_EN: 1
; COMPUTE_PGM_RSRC2:TGID_Y_EN: 0
; COMPUTE_PGM_RSRC2:TGID_Z_EN: 0
; COMPUTE_PGM_RSRC2:TIDIG_COMP_CNT: 0
	.type	__hip_cuid_1401673665f03812,@object ; @__hip_cuid_1401673665f03812
	.section	.bss,"aw",@nobits
	.globl	__hip_cuid_1401673665f03812
__hip_cuid_1401673665f03812:
	.byte	0                               ; 0x0
	.size	__hip_cuid_1401673665f03812, 1

	.ident	"AMD clang version 19.0.0git (https://github.com/RadeonOpenCompute/llvm-project roc-6.4.0 25133 c7fe45cf4b819c5991fe208aaa96edf142730f1d)"
	.section	".note.GNU-stack","",@progbits
	.addrsig
	.addrsig_sym __hip_cuid_1401673665f03812
	.amdgpu_metadata
---
amdhsa.kernels:
  - .args:
      - .actual_access:  read_only
        .address_space:  global
        .offset:         0
        .size:           8
        .value_kind:     global_buffer
      - .address_space:  global
        .offset:         8
        .size:           8
        .value_kind:     global_buffer
      - .actual_access:  read_only
        .address_space:  global
        .offset:         16
        .size:           8
        .value_kind:     global_buffer
      - .actual_access:  read_only
        .address_space:  global
        .offset:         24
        .size:           8
        .value_kind:     global_buffer
      - .offset:         32
        .size:           8
        .value_kind:     by_value
      - .actual_access:  read_only
        .address_space:  global
        .offset:         40
        .size:           8
        .value_kind:     global_buffer
      - .actual_access:  read_only
        .address_space:  global
        .offset:         48
        .size:           8
        .value_kind:     global_buffer
      - .offset:         56
        .size:           4
        .value_kind:     by_value
      - .actual_access:  read_only
        .address_space:  global
        .offset:         64
        .size:           8
        .value_kind:     global_buffer
      - .actual_access:  read_only
        .address_space:  global
        .offset:         72
        .size:           8
        .value_kind:     global_buffer
      - .address_space:  global
        .offset:         80
        .size:           8
        .value_kind:     global_buffer
    .group_segment_fixed_size: 0
    .kernarg_segment_align: 8
    .kernarg_segment_size: 88
    .language:       OpenCL C
    .language_version:
      - 2
      - 0
    .max_flat_workgroup_size: 189
    .name:           fft_rtc_fwd_len84_factors_2_6_7_wgs_189_tpt_7_dim2_sp_ip_CI_sbcc_twdbase8_3step_dirReg
    .private_segment_fixed_size: 0
    .sgpr_count:     28
    .sgpr_spill_count: 0
    .symbol:         fft_rtc_fwd_len84_factors_2_6_7_wgs_189_tpt_7_dim2_sp_ip_CI_sbcc_twdbase8_3step_dirReg.kd
    .uniform_work_group_size: 1
    .uses_dynamic_stack: false
    .vgpr_count:     117
    .vgpr_spill_count: 0
    .wavefront_size: 64
amdhsa.target:   amdgcn-amd-amdhsa--gfx906
amdhsa.version:
  - 1
  - 2
...

	.end_amdgpu_metadata
